;; amdgpu-corpus repo=ROCm/rocFFT kind=compiled arch=gfx906 opt=O3
	.text
	.amdgcn_target "amdgcn-amd-amdhsa--gfx906"
	.amdhsa_code_object_version 6
	.protected	fft_rtc_fwd_len100_factors_10_10_wgs_100_tpt_10_dp_op_CI_CI_sbcr ; -- Begin function fft_rtc_fwd_len100_factors_10_10_wgs_100_tpt_10_dp_op_CI_CI_sbcr
	.globl	fft_rtc_fwd_len100_factors_10_10_wgs_100_tpt_10_dp_op_CI_CI_sbcr
	.p2align	8
	.type	fft_rtc_fwd_len100_factors_10_10_wgs_100_tpt_10_dp_op_CI_CI_sbcr,@function
fft_rtc_fwd_len100_factors_10_10_wgs_100_tpt_10_dp_op_CI_CI_sbcr: ; @fft_rtc_fwd_len100_factors_10_10_wgs_100_tpt_10_dp_op_CI_CI_sbcr
; %bb.0:
	s_load_dwordx4 s[24:27], s[4:5], 0x10
	s_load_dwordx2 s[2:3], s[4:5], 0x20
	s_mov_b32 s7, 0
	s_mov_b64 s[30:31], 0
	s_waitcnt lgkmcnt(0)
	s_load_dwordx2 s[28:29], s[24:25], 0x8
	s_waitcnt lgkmcnt(0)
	s_add_u32 s0, s28, -1
	s_addc_u32 s1, s29, -1
	s_add_u32 s8, 0, 0x99986000
	s_addc_u32 s9, 0, 0x59
	s_mul_hi_u32 s11, s8, -10
	s_add_i32 s9, s9, 0x19999940
	s_sub_i32 s11, s11, s8
	s_mul_i32 s14, s9, -10
	s_mul_i32 s10, s8, -10
	s_add_i32 s11, s11, s14
	s_mul_hi_u32 s12, s9, s10
	s_mul_i32 s13, s9, s10
	s_mul_i32 s15, s8, s11
	s_mul_hi_u32 s10, s8, s10
	s_mul_hi_u32 s14, s8, s11
	s_add_u32 s10, s10, s15
	s_addc_u32 s14, 0, s14
	s_add_u32 s10, s10, s13
	s_mul_hi_u32 s15, s9, s11
	s_addc_u32 s10, s14, s12
	s_addc_u32 s12, s15, 0
	s_mul_i32 s11, s9, s11
	s_add_u32 s10, s10, s11
	v_mov_b32_e32 v1, s10
	s_addc_u32 s11, 0, s12
	v_add_co_u32_e32 v1, vcc, s8, v1
	s_cmp_lg_u64 vcc, 0
	s_addc_u32 s8, s9, s11
	v_readfirstlane_b32 s11, v1
	s_mul_i32 s10, s0, s8
	s_mul_hi_u32 s12, s0, s11
	s_mul_hi_u32 s9, s0, s8
	s_add_u32 s10, s12, s10
	s_addc_u32 s9, 0, s9
	s_mul_hi_u32 s13, s1, s11
	s_mul_i32 s11, s1, s11
	s_add_u32 s10, s10, s11
	s_mul_hi_u32 s12, s1, s8
	s_addc_u32 s9, s9, s13
	s_addc_u32 s10, s12, 0
	s_mul_i32 s8, s1, s8
	s_add_u32 s8, s9, s8
	s_addc_u32 s9, 0, s10
	s_add_u32 s10, s8, 1
	s_addc_u32 s11, s9, 0
	s_add_u32 s12, s8, 2
	s_mul_i32 s14, s9, 10
	s_mul_hi_u32 s15, s8, 10
	s_addc_u32 s13, s9, 0
	s_add_i32 s15, s15, s14
	s_mul_i32 s14, s8, 10
	v_mov_b32_e32 v1, s14
	v_sub_co_u32_e32 v1, vcc, s0, v1
	s_cmp_lg_u64 vcc, 0
	s_subb_u32 s0, s1, s15
	v_subrev_co_u32_e32 v2, vcc, 10, v1
	s_cmp_lg_u64 vcc, 0
	s_subb_u32 s1, s0, 0
	v_readfirstlane_b32 s14, v2
	s_cmp_gt_u32 s14, 9
	s_cselect_b32 s14, -1, 0
	s_cmp_eq_u32 s1, 0
	s_cselect_b32 s1, s14, -1
	s_cmp_lg_u32 s1, 0
	s_cselect_b32 s1, s12, s10
	s_cselect_b32 s10, s13, s11
	v_readfirstlane_b32 s11, v1
	s_cmp_gt_u32 s11, 9
	s_cselect_b32 s11, -1, 0
	s_cmp_eq_u32 s0, 0
	s_cselect_b32 s0, s11, -1
	s_cmp_lg_u32 s0, 0
	s_cselect_b32 s1, s1, s8
	s_cselect_b32 s0, s10, s9
	s_add_u32 s34, s1, 1
	s_addc_u32 s35, s0, 0
	v_mov_b32_e32 v1, s34
	v_mov_b32_e32 v2, s35
	v_cmp_lt_u64_e32 vcc, s[6:7], v[1:2]
	s_cbranch_vccnz .LBB0_2
; %bb.1:
	v_cvt_f32_u32_e32 v1, s34
	s_sub_i32 s0, 0, s34
	s_mov_b32 s31, s7
	v_rcp_iflag_f32_e32 v1, v1
	v_mul_f32_e32 v1, 0x4f7ffffe, v1
	v_cvt_u32_f32_e32 v1, v1
	v_readfirstlane_b32 s1, v1
	s_mul_i32 s0, s0, s1
	s_mul_hi_u32 s0, s1, s0
	s_add_i32 s1, s1, s0
	s_mul_hi_u32 s0, s6, s1
	s_mul_i32 s8, s0, s34
	s_sub_i32 s8, s6, s8
	s_add_i32 s1, s0, 1
	s_sub_i32 s9, s8, s34
	s_cmp_ge_u32 s8, s34
	s_cselect_b32 s0, s1, s0
	s_cselect_b32 s8, s9, s8
	s_add_i32 s1, s0, 1
	s_cmp_ge_u32 s8, s34
	s_cselect_b32 s30, s1, s0
.LBB0_2:
	s_mul_i32 s0, s30, s35
	s_mul_hi_u32 s1, s30, s34
	s_add_i32 s1, s1, s0
	s_mul_i32 s0, s30, s34
	s_load_dwordx4 s[12:15], s[4:5], 0x58
	s_load_dwordx4 s[16:19], s[4:5], 0x0
	;; [unrolled: 1-line block ×4, first 2 shown]
	s_sub_u32 s48, s6, s0
	s_subb_u32 s0, 0, s1
	s_mul_i32 s0, s0, 10
	s_mul_hi_u32 s33, s48, 10
	s_add_i32 s33, s33, s0
	s_mul_i32 s48, s48, 10
	s_waitcnt lgkmcnt(0)
	s_mul_i32 s0, s22, s33
	s_mul_hi_u32 s1, s22, s48
	s_add_i32 s0, s1, s0
	s_mul_i32 s1, s23, s48
	s_add_i32 s5, s0, s1
	s_mul_i32 s0, s10, s33
	s_mul_hi_u32 s1, s10, s48
	s_add_i32 s0, s1, s0
	s_mul_i32 s1, s11, s48
	s_add_i32 s49, s0, s1
	v_cmp_lt_u64_e64 s[0:1], s[18:19], 3
	s_mul_i32 s4, s22, s48
	s_mul_i32 s50, s10, s48
	s_and_b64 vcc, exec, s[0:1]
	s_cbranch_vccnz .LBB0_12
; %bb.3:
	s_add_u32 s36, s2, 16
	s_addc_u32 s37, s3, 0
	s_add_u32 s38, s26, 16
	s_addc_u32 s39, s27, 0
	s_add_u32 s24, s24, 16
	v_mov_b32_e32 v1, s18
	s_addc_u32 s25, s25, 0
	s_mov_b64 s[40:41], 2
	s_mov_b32 s42, 0
	v_mov_b32_e32 v2, s19
.LBB0_4:                                ; =>This Inner Loop Header: Depth=1
	s_load_dwordx2 s[44:45], s[24:25], 0x0
	s_waitcnt lgkmcnt(0)
	s_or_b64 s[0:1], s[30:31], s[44:45]
	s_mov_b32 s43, s1
	s_cmp_lg_u64 s[42:43], 0
	s_cbranch_scc0 .LBB0_9
; %bb.5:                                ;   in Loop: Header=BB0_4 Depth=1
	v_cvt_f32_u32_e32 v3, s44
	v_cvt_f32_u32_e32 v4, s45
	s_sub_u32 s0, 0, s44
	s_subb_u32 s1, 0, s45
	v_mac_f32_e32 v3, 0x4f800000, v4
	v_rcp_f32_e32 v3, v3
	v_mul_f32_e32 v3, 0x5f7ffffc, v3
	v_mul_f32_e32 v4, 0x2f800000, v3
	v_trunc_f32_e32 v4, v4
	v_mac_f32_e32 v3, 0xcf800000, v4
	v_cvt_u32_f32_e32 v4, v4
	v_cvt_u32_f32_e32 v3, v3
	v_readfirstlane_b32 s43, v4
	v_readfirstlane_b32 s46, v3
	s_mul_i32 s47, s0, s43
	s_mul_hi_u32 s52, s0, s46
	s_mul_i32 s51, s1, s46
	s_add_i32 s47, s52, s47
	s_mul_i32 s53, s0, s46
	s_add_i32 s47, s47, s51
	s_mul_hi_u32 s51, s46, s47
	s_mul_i32 s52, s46, s47
	s_mul_hi_u32 s46, s46, s53
	s_add_u32 s46, s46, s52
	s_addc_u32 s51, 0, s51
	s_mul_hi_u32 s54, s43, s53
	s_mul_i32 s53, s43, s53
	s_add_u32 s46, s46, s53
	s_mul_hi_u32 s52, s43, s47
	s_addc_u32 s46, s51, s54
	s_addc_u32 s51, s52, 0
	s_mul_i32 s47, s43, s47
	s_add_u32 s46, s46, s47
	s_addc_u32 s47, 0, s51
	v_add_co_u32_e32 v3, vcc, s46, v3
	s_cmp_lg_u64 vcc, 0
	s_addc_u32 s43, s43, s47
	v_readfirstlane_b32 s47, v3
	s_mul_i32 s46, s0, s43
	s_mul_hi_u32 s51, s0, s47
	s_add_i32 s46, s51, s46
	s_mul_i32 s1, s1, s47
	s_add_i32 s46, s46, s1
	s_mul_i32 s0, s0, s47
	s_mul_hi_u32 s51, s43, s0
	s_mul_i32 s52, s43, s0
	s_mul_i32 s54, s47, s46
	s_mul_hi_u32 s0, s47, s0
	s_mul_hi_u32 s53, s47, s46
	s_add_u32 s0, s0, s54
	s_addc_u32 s47, 0, s53
	s_add_u32 s0, s0, s52
	s_mul_hi_u32 s1, s43, s46
	s_addc_u32 s0, s47, s51
	s_addc_u32 s1, s1, 0
	s_mul_i32 s46, s43, s46
	s_add_u32 s0, s0, s46
	s_addc_u32 s1, 0, s1
	v_add_co_u32_e32 v3, vcc, s0, v3
	s_cmp_lg_u64 vcc, 0
	s_addc_u32 s0, s43, s1
	v_readfirstlane_b32 s46, v3
	s_mul_i32 s43, s30, s0
	s_mul_hi_u32 s47, s30, s46
	s_mul_hi_u32 s1, s30, s0
	s_add_u32 s43, s47, s43
	s_addc_u32 s1, 0, s1
	s_mul_hi_u32 s51, s31, s46
	s_mul_i32 s46, s31, s46
	s_add_u32 s43, s43, s46
	s_mul_hi_u32 s47, s31, s0
	s_addc_u32 s1, s1, s51
	s_addc_u32 s43, s47, 0
	s_mul_i32 s0, s31, s0
	s_add_u32 s46, s1, s0
	s_addc_u32 s43, 0, s43
	s_mul_i32 s0, s44, s43
	s_mul_hi_u32 s1, s44, s46
	s_add_i32 s0, s1, s0
	s_mul_i32 s1, s45, s46
	s_add_i32 s47, s0, s1
	s_mul_i32 s1, s44, s46
	v_mov_b32_e32 v3, s1
	s_sub_i32 s0, s31, s47
	v_sub_co_u32_e32 v3, vcc, s30, v3
	s_cmp_lg_u64 vcc, 0
	s_subb_u32 s51, s0, s45
	v_subrev_co_u32_e64 v4, s[0:1], s44, v3
	s_cmp_lg_u64 s[0:1], 0
	s_subb_u32 s0, s51, 0
	s_cmp_ge_u32 s0, s45
	v_readfirstlane_b32 s51, v4
	s_cselect_b32 s1, -1, 0
	s_cmp_ge_u32 s51, s44
	s_cselect_b32 s51, -1, 0
	s_cmp_eq_u32 s0, s45
	s_cselect_b32 s0, s51, s1
	s_add_u32 s1, s46, 1
	s_addc_u32 s51, s43, 0
	s_add_u32 s52, s46, 2
	s_addc_u32 s53, s43, 0
	s_cmp_lg_u32 s0, 0
	s_cselect_b32 s0, s52, s1
	s_cselect_b32 s1, s53, s51
	s_cmp_lg_u64 vcc, 0
	s_subb_u32 s47, s31, s47
	s_cmp_ge_u32 s47, s45
	v_readfirstlane_b32 s52, v3
	s_cselect_b32 s51, -1, 0
	s_cmp_ge_u32 s52, s44
	s_cselect_b32 s52, -1, 0
	s_cmp_eq_u32 s47, s45
	s_cselect_b32 s47, s52, s51
	s_cmp_lg_u32 s47, 0
	s_cselect_b32 s1, s1, s43
	s_cselect_b32 s0, s0, s46
	s_cbranch_execnz .LBB0_7
.LBB0_6:                                ;   in Loop: Header=BB0_4 Depth=1
	v_cvt_f32_u32_e32 v3, s44
	s_sub_i32 s0, 0, s44
	v_rcp_iflag_f32_e32 v3, v3
	v_mul_f32_e32 v3, 0x4f7ffffe, v3
	v_cvt_u32_f32_e32 v3, v3
	v_readfirstlane_b32 s1, v3
	s_mul_i32 s0, s0, s1
	s_mul_hi_u32 s0, s1, s0
	s_add_i32 s1, s1, s0
	s_mul_hi_u32 s0, s30, s1
	s_mul_i32 s43, s0, s44
	s_sub_i32 s43, s30, s43
	s_add_i32 s1, s0, 1
	s_sub_i32 s46, s43, s44
	s_cmp_ge_u32 s43, s44
	s_cselect_b32 s0, s1, s0
	s_cselect_b32 s43, s46, s43
	s_add_i32 s1, s0, 1
	s_cmp_ge_u32 s43, s44
	s_cselect_b32 s0, s1, s0
	s_mov_b32 s1, s42
.LBB0_7:                                ;   in Loop: Header=BB0_4 Depth=1
	s_mul_i32 s35, s44, s35
	s_mul_hi_u32 s43, s44, s34
	s_add_i32 s35, s43, s35
	s_mul_i32 s43, s45, s34
	s_add_i32 s35, s35, s43
	s_mul_i32 s43, s0, s45
	s_mul_hi_u32 s45, s0, s44
	s_load_dwordx2 s[46:47], s[38:39], 0x0
	s_add_i32 s43, s45, s43
	s_mul_i32 s45, s1, s44
	s_mul_i32 s34, s44, s34
	s_add_i32 s43, s43, s45
	s_mul_i32 s44, s0, s44
	s_sub_u32 s44, s30, s44
	s_subb_u32 s43, s31, s43
	s_waitcnt lgkmcnt(0)
	s_mul_i32 s30, s46, s43
	s_mul_hi_u32 s31, s46, s44
	s_add_i32 s45, s31, s30
	s_load_dwordx2 s[30:31], s[36:37], 0x0
	s_mul_i32 s47, s47, s44
	s_add_i32 s45, s45, s47
	s_mul_i32 s46, s46, s44
	s_add_u32 s4, s46, s4
	s_addc_u32 s5, s45, s5
	s_waitcnt lgkmcnt(0)
	s_mul_i32 s43, s30, s43
	s_mul_hi_u32 s45, s30, s44
	s_add_i32 s43, s45, s43
	s_mul_i32 s31, s31, s44
	s_add_i32 s43, s43, s31
	s_mul_i32 s30, s30, s44
	s_add_u32 s50, s30, s50
	s_addc_u32 s49, s43, s49
	s_add_u32 s40, s40, 1
	s_addc_u32 s41, s41, 0
	;; [unrolled: 2-line block ×4, first 2 shown]
	v_cmp_ge_u64_e32 vcc, s[40:41], v[1:2]
	s_add_u32 s24, s24, 8
	s_addc_u32 s25, s25, 0
	s_cbranch_vccnz .LBB0_10
; %bb.8:                                ;   in Loop: Header=BB0_4 Depth=1
	s_mov_b64 s[30:31], s[0:1]
	s_branch .LBB0_4
.LBB0_9:                                ;   in Loop: Header=BB0_4 Depth=1
                                        ; implicit-def: $sgpr0_sgpr1
	s_branch .LBB0_6
.LBB0_10:
	v_mov_b32_e32 v1, s34
	v_mov_b32_e32 v2, s35
	v_cmp_lt_u64_e32 vcc, s[6:7], v[1:2]
	s_mov_b64 s[30:31], 0
	s_cbranch_vccnz .LBB0_12
; %bb.11:
	v_cvt_f32_u32_e32 v1, s34
	s_sub_i32 s0, 0, s34
	v_rcp_iflag_f32_e32 v1, v1
	v_mul_f32_e32 v1, 0x4f7ffffe, v1
	v_cvt_u32_f32_e32 v1, v1
	v_readfirstlane_b32 s1, v1
	s_mul_i32 s0, s0, s1
	s_mul_hi_u32 s0, s1, s0
	s_add_i32 s1, s1, s0
	s_mul_hi_u32 s0, s6, s1
	s_mul_i32 s7, s0, s34
	s_sub_i32 s6, s6, s7
	s_add_i32 s1, s0, 1
	s_sub_i32 s7, s6, s34
	s_cmp_ge_u32 s6, s34
	s_cselect_b32 s0, s1, s0
	s_cselect_b32 s6, s7, s6
	s_add_i32 s1, s0, 1
	s_cmp_ge_u32 s6, s34
	s_cselect_b32 s30, s1, s0
.LBB0_12:
	v_mul_u32_u24_e32 v1, 0x199a, v0
	s_lshl_b64 s[18:19], s[18:19], 3
	v_lshrrev_b32_e32 v1, 16, v1
	s_add_u32 s0, s2, s18
	v_mul_lo_u16_e32 v4, 10, v1
	s_addc_u32 s1, s3, s19
	v_sub_u16_e32 v28, v0, v4
	s_load_dwordx2 s[6:7], s[0:1], 0x0
	s_add_u32 s24, s48, 10
	v_mov_b32_e32 v2, s28
	v_mov_b32_e32 v5, s33
	v_add_co_u32_e64 v4, s[0:1], s48, v28
	s_addc_u32 s25, s33, 0
	v_mov_b32_e32 v3, s29
	v_addc_co_u32_e64 v5, s[0:1], 0, v5, s[0:1]
	v_cmp_le_u64_e32 vcc, s[24:25], v[2:3]
	v_cmp_gt_u64_e64 s[2:3], s[28:29], v[4:5]
	v_cmp_gt_u64_e64 s[0:1], s[24:25], v[2:3]
	s_or_b64 s[24:25], vcc, s[2:3]
	s_and_saveexec_b64 s[2:3], s[24:25]
	s_cbranch_execz .LBB0_14
; %bb.13:
	s_add_u32 s18, s26, s18
	s_addc_u32 s19, s27, s19
	s_load_dwordx2 s[18:19], s[18:19], 0x0
	v_mad_u64_u32 v[2:3], s[24:25], s22, v28, 0
	v_mad_u64_u32 v[4:5], s[24:25], s20, v1, 0
	s_waitcnt lgkmcnt(0)
	s_mul_i32 s19, s19, s30
	s_mul_hi_u32 s26, s18, s30
	s_add_i32 s19, s26, s19
	s_mul_i32 s18, s18, s30
	v_mad_u64_u32 v[6:7], s[22:23], s23, v28, v[3:4]
	v_mov_b32_e32 v3, v5
	s_lshl_b64 s[18:19], s[18:19], 4
	v_mad_u64_u32 v[7:8], s[22:23], s21, v1, v[3:4]
	s_add_u32 s12, s12, s18
	s_addc_u32 s13, s13, s19
	s_lshl_b64 s[4:5], s[4:5], 4
	s_add_u32 s12, s12, s4
	s_addc_u32 s4, s13, s5
	v_add_u32_e32 v9, 10, v1
	v_mov_b32_e32 v3, v6
	v_mov_b32_e32 v5, v7
	;; [unrolled: 1-line block ×3, first 2 shown]
	v_mad_u64_u32 v[6:7], s[4:5], s20, v9, 0
	v_lshlrev_b64 v[2:3], 4, v[2:3]
	v_add_u32_e32 v19, 30, v1
	v_add_co_u32_e32 v45, vcc, s12, v2
	v_addc_co_u32_e32 v46, vcc, v8, v3, vcc
	v_lshlrev_b64 v[2:3], 4, v[4:5]
	v_mov_b32_e32 v4, v7
	v_mad_u64_u32 v[4:5], s[4:5], s21, v9, v[4:5]
	v_add_co_u32_e32 v10, vcc, v45, v2
	v_mov_b32_e32 v7, v4
	v_add_u32_e32 v4, 20, v1
	v_mad_u64_u32 v[12:13], s[4:5], s20, v4, 0
	v_addc_co_u32_e32 v11, vcc, v46, v3, vcc
	v_lshlrev_b64 v[2:3], 4, v[6:7]
	v_add_u32_e32 v29, 50, v1
	v_add_co_u32_e32 v14, vcc, v45, v2
	v_mov_b32_e32 v2, v13
	v_mad_u64_u32 v[16:17], s[4:5], s21, v4, v[2:3]
	v_mad_u64_u32 v[17:18], s[4:5], s20, v19, 0
	v_mov_b32_e32 v13, v16
	v_addc_co_u32_e32 v15, vcc, v46, v3, vcc
	global_load_dwordx4 v[2:5], v[10:11], off
	global_load_dwordx4 v[6:9], v[14:15], off
	v_lshlrev_b64 v[10:11], 4, v[12:13]
	v_mov_b32_e32 v12, v18
	v_mad_u64_u32 v[12:13], s[4:5], s21, v19, v[12:13]
	v_add_co_u32_e32 v19, vcc, v45, v10
	v_mov_b32_e32 v18, v12
	v_add_u32_e32 v12, 40, v1
	v_mad_u64_u32 v[21:22], s[4:5], s20, v12, 0
	v_addc_co_u32_e32 v20, vcc, v46, v11, vcc
	v_lshlrev_b64 v[10:11], 4, v[17:18]
	v_add_u32_e32 v36, 0x46, v1
	v_add_co_u32_e32 v23, vcc, v45, v10
	v_mov_b32_e32 v10, v22
	v_mad_u64_u32 v[25:26], s[4:5], s21, v12, v[10:11]
	v_mad_u64_u32 v[26:27], s[4:5], s20, v29, 0
	v_addc_co_u32_e32 v24, vcc, v46, v11, vcc
	v_mov_b32_e32 v18, v27
	global_load_dwordx4 v[10:13], v[19:20], off
	global_load_dwordx4 v[14:17], v[23:24], off
	v_mov_b32_e32 v22, v25
	v_mad_u64_u32 v[18:19], s[4:5], s21, v29, v[18:19]
	v_lshlrev_b64 v[19:20], 4, v[21:22]
	v_add_co_u32_e32 v29, vcc, v45, v19
	v_addc_co_u32_e32 v30, vcc, v46, v20, vcc
	v_mov_b32_e32 v27, v18
	v_add_u32_e32 v20, 60, v1
	v_lshlrev_b64 v[18:19], 4, v[26:27]
	v_mad_u64_u32 v[26:27], s[4:5], s20, v20, 0
	v_add_co_u32_e32 v31, vcc, v45, v18
	v_mov_b32_e32 v18, v27
	v_mad_u64_u32 v[33:34], s[4:5], s21, v20, v[18:19]
	v_mad_u64_u32 v[34:35], s[4:5], s20, v36, 0
	v_addc_co_u32_e32 v32, vcc, v46, v19, vcc
	global_load_dwordx4 v[18:21], v[29:30], off
	global_load_dwordx4 v[22:25], v[31:32], off
	v_mov_b32_e32 v29, v35
	v_mad_u64_u32 v[29:30], s[4:5], s21, v36, v[29:30]
	v_or_b32_e32 v36, 0x50, v1
	v_mad_u64_u32 v[30:31], s[4:5], s20, v36, 0
	v_mov_b32_e32 v35, v29
	v_mov_b32_e32 v27, v33
	;; [unrolled: 1-line block ×3, first 2 shown]
	v_lshlrev_b64 v[32:33], 4, v[34:35]
	v_mad_u64_u32 v[34:35], s[4:5], s21, v36, v[29:30]
	v_lshlrev_b64 v[26:27], 4, v[26:27]
	v_add_u32_e32 v35, 0x5a, v1
	v_add_co_u32_e32 v26, vcc, v45, v26
	v_mad_u64_u32 v[41:42], s[4:5], s20, v35, 0
	v_addc_co_u32_e32 v27, vcc, v46, v27, vcc
	v_mov_b32_e32 v31, v34
	v_add_co_u32_e32 v37, vcc, v45, v32
	v_lshlrev_b64 v[29:30], 4, v[30:31]
	v_addc_co_u32_e32 v38, vcc, v46, v33, vcc
	v_mov_b32_e32 v31, v42
	v_add_co_u32_e32 v43, vcc, v45, v29
	v_mad_u64_u32 v[39:40], s[4:5], s21, v35, v[31:32]
	v_addc_co_u32_e32 v44, vcc, v46, v30, vcc
	global_load_dwordx4 v[29:32], v[26:27], off
	global_load_dwordx4 v[33:36], v[37:38], off
	v_mov_b32_e32 v42, v39
	v_lshlrev_b64 v[26:27], 4, v[41:42]
	global_load_dwordx4 v[37:40], v[43:44], off
	v_add_co_u32_e32 v26, vcc, v45, v26
	v_addc_co_u32_e32 v27, vcc, v46, v27, vcc
	global_load_dwordx4 v[41:44], v[26:27], off
	v_mul_u32_u24_e32 v26, 0x640, v28
	v_lshlrev_b32_e32 v27, 4, v1
	v_add3_u32 v26, 0, v26, v27
	s_waitcnt vmcnt(9)
	ds_write_b128 v26, v[2:5]
	s_waitcnt vmcnt(8)
	ds_write_b128 v26, v[6:9] offset:160
	s_waitcnt vmcnt(7)
	ds_write_b128 v26, v[10:13] offset:320
	;; [unrolled: 2-line block ×9, first 2 shown]
.LBB0_14:
	s_or_b64 exec, exec, s[2:3]
	s_waitcnt lgkmcnt(0)
	s_mul_i32 s2, s7, s30
	s_mul_hi_u32 s3, s6, s30
	s_add_i32 s3, s3, s2
	s_mul_i32 s2, s6, s30
	s_add_u32 s2, s2, s50
	s_addc_u32 s3, s3, s49
	s_add_u32 s4, 0, 0x99986000
	s_addc_u32 s5, 0, 0x59
	s_add_i32 s5, s5, 0x19999940
	s_mul_hi_u32 s13, s4, -10
	s_sub_i32 s13, s13, s4
	s_mul_i32 s18, s5, -10
	s_mul_i32 s6, s4, -10
	s_add_i32 s13, s13, s18
	s_mul_hi_u32 s7, s5, s6
	s_mul_i32 s12, s5, s6
	s_mul_i32 s19, s4, s13
	s_mul_hi_u32 s6, s4, s6
	s_mul_hi_u32 s18, s4, s13
	s_add_u32 s6, s6, s19
	s_addc_u32 s18, 0, s18
	s_add_u32 s6, s6, s12
	s_mul_hi_u32 s19, s5, s13
	s_addc_u32 s6, s18, s7
	s_addc_u32 s7, s19, 0
	s_mul_i32 s12, s5, s13
	v_mov_b32_e32 v2, s33
	v_add_co_u32_e32 v5, vcc, s48, v1
	s_add_u32 s6, s6, s12
	v_addc_co_u32_e32 v6, vcc, 0, v2, vcc
	v_mov_b32_e32 v1, s6
	s_addc_u32 s7, 0, s7
	v_add_co_u32_e32 v3, vcc, s4, v1
	s_cmp_lg_u64 vcc, 0
	s_addc_u32 s6, s5, s7
	v_mad_u64_u32 v[1:2], s[4:5], v5, s6, 0
	v_mul_hi_u32 v4, v5, v3
	s_barrier
	v_add_co_u32_e32 v7, vcc, v4, v1
	v_addc_co_u32_e32 v8, vcc, 0, v2, vcc
	v_mad_u64_u32 v[1:2], s[4:5], v6, v3, 0
	v_mad_u64_u32 v[3:4], s[4:5], v6, s6, 0
	v_add_co_u32_e32 v1, vcc, v7, v1
	v_addc_co_u32_e32 v1, vcc, v8, v2, vcc
	v_addc_co_u32_e32 v2, vcc, 0, v4, vcc
	v_add_co_u32_e32 v1, vcc, v1, v3
	v_addc_co_u32_e32 v3, vcc, 0, v2, vcc
	v_mad_u64_u32 v[1:2], s[4:5], v1, 10, 0
	s_mov_b32 s6, 0x4755a5e
	s_mov_b32 s7, 0x3fe2cf23
	v_mad_u64_u32 v[2:3], s[4:5], v3, 10, v[2:3]
	v_sub_co_u32_e32 v1, vcc, v5, v1
	v_subb_co_u32_e32 v2, vcc, v6, v2, vcc
	v_subrev_co_u32_e32 v3, vcc, 10, v1
	v_subbrev_co_u32_e32 v4, vcc, 0, v2, vcc
	v_cmp_lt_u32_e32 vcc, 9, v3
	v_cndmask_b32_e64 v5, 0, -1, vcc
	v_cmp_eq_u32_e32 vcc, 0, v4
	v_cndmask_b32_e32 v4, -1, v5, vcc
	v_add_u32_e32 v5, -10, v3
	v_cmp_ne_u32_e32 vcc, 0, v4
	v_cndmask_b32_e32 v3, v3, v5, vcc
	v_cmp_lt_u32_e32 vcc, 9, v1
	v_cndmask_b32_e64 v4, 0, -1, vcc
	v_cmp_eq_u32_e32 vcc, 0, v2
	v_cndmask_b32_e32 v2, -1, v4, vcc
	v_cmp_ne_u32_e32 vcc, 0, v2
	v_cndmask_b32_e32 v1, v1, v3, vcc
	v_mul_u32_u24_e32 v1, 0x64, v1
	v_lshlrev_b32_e32 v1, 4, v1
	v_lshlrev_b32_e32 v2, 4, v28
	v_add3_u32 v29, 0, v1, v2
	v_add3_u32 v27, 0, v2, v1
	ds_read_b128 v[23:26], v29
	ds_read_b128 v[17:20], v27 offset:160
	ds_read_b128 v[30:33], v27 offset:320
	;; [unrolled: 1-line block ×6, first 2 shown]
	s_waitcnt lgkmcnt(4)
	v_add_f64 v[5:6], v[23:24], v[30:31]
	ds_read_b128 v[9:12], v27 offset:1120
	ds_read_b128 v[42:45], v27 offset:1280
	s_waitcnt lgkmcnt(4)
	v_add_f64 v[21:22], v[34:35], v[38:39]
	s_mov_b32 s4, 0x134454ff
	s_mov_b32 s5, 0x3fee6f0e
	v_add_f64 v[52:53], v[36:37], -v[40:41]
	s_waitcnt lgkmcnt(0)
	v_add_f64 v[50:51], v[32:33], -v[44:45]
	v_add_f64 v[46:47], v[5:6], v[34:35]
	v_add_f64 v[54:55], v[30:31], -v[34:35]
	v_add_f64 v[56:57], v[42:43], -v[38:39]
	v_fma_f64 v[48:49], v[21:22], -0.5, v[23:24]
	v_add_f64 v[58:59], v[30:31], v[42:43]
	s_mov_b32 s19, 0xbfee6f0e
	s_mov_b32 s18, s4
	v_add_f64 v[60:61], v[25:26], v[32:33]
	v_add_f64 v[21:22], v[46:47], v[38:39]
	v_add_f64 v[62:63], v[30:31], -v[42:43]
	v_add_f64 v[54:55], v[54:55], v[56:57]
	v_fma_f64 v[46:47], v[50:51], s[4:5], v[48:49]
	v_fma_f64 v[56:57], v[58:59], -0.5, v[23:24]
	v_add_f64 v[58:59], v[36:37], v[40:41]
	v_fma_f64 v[48:49], v[50:51], s[18:19], v[48:49]
	v_add_f64 v[30:31], v[34:35], -v[30:31]
	v_add_f64 v[21:22], v[21:22], v[42:43]
	v_add_f64 v[42:43], v[38:39], -v[42:43]
	s_mov_b32 s12, 0x372fe950
	v_fma_f64 v[46:47], v[52:53], s[6:7], v[46:47]
	s_mov_b32 s13, 0x3fd3c6ef
	s_mov_b32 s21, 0xbfe2cf23
	;; [unrolled: 1-line block ×3, first 2 shown]
	v_fma_f64 v[58:59], v[58:59], -0.5, v[25:26]
	v_fma_f64 v[48:49], v[52:53], s[20:21], v[48:49]
	v_add_f64 v[30:31], v[30:31], v[42:43]
	v_add_f64 v[42:43], v[32:33], v[44:45]
	v_fma_f64 v[23:24], v[54:55], s[12:13], v[46:47]
	v_fma_f64 v[46:47], v[52:53], s[18:19], v[56:57]
	;; [unrolled: 1-line block ×3, first 2 shown]
	v_add_f64 v[56:57], v[60:61], v[36:37]
	v_fma_f64 v[60:61], v[62:63], s[18:19], v[58:59]
	v_add_f64 v[34:35], v[34:35], -v[38:39]
	v_fma_f64 v[48:49], v[54:55], s[12:13], v[48:49]
	v_add_f64 v[54:55], v[1:2], v[9:10]
	v_fma_f64 v[25:26], v[42:43], -0.5, v[25:26]
	v_fma_f64 v[46:47], v[50:51], s[6:7], v[46:47]
	v_fma_f64 v[50:51], v[50:51], s[20:21], v[52:53]
	v_add_f64 v[52:53], v[56:57], v[40:41]
	ds_read_b128 v[5:8], v27 offset:1440
	v_add_f64 v[38:39], v[32:33], -v[36:37]
	v_add_f64 v[64:65], v[44:45], -v[40:41]
	v_fma_f64 v[56:57], v[34:35], s[20:21], v[60:61]
	v_fma_f64 v[58:59], v[62:63], s[4:5], v[58:59]
	;; [unrolled: 1-line block ×4, first 2 shown]
	v_add_f64 v[50:51], v[52:53], v[44:45]
	v_add_f64 v[30:31], v[17:18], v[13:14]
	v_fma_f64 v[52:53], v[54:55], -0.5, v[17:18]
	s_waitcnt lgkmcnt(0)
	v_add_f64 v[54:55], v[15:16], -v[7:8]
	v_fma_f64 v[60:61], v[34:35], s[4:5], v[25:26]
	v_add_f64 v[32:33], v[36:37], -v[32:33]
	v_add_f64 v[36:37], v[40:41], -v[44:45]
	v_fma_f64 v[25:26], v[34:35], s[18:19], v[25:26]
	v_add_f64 v[38:39], v[38:39], v[64:65]
	v_add_f64 v[30:31], v[30:31], v[1:2]
	v_add_f64 v[44:45], v[3:4], -v[11:12]
	v_fma_f64 v[40:41], v[54:55], s[4:5], v[52:53]
	v_add_f64 v[64:65], v[13:14], -v[1:2]
	v_add_f64 v[66:67], v[5:6], -v[9:10]
	v_fma_f64 v[34:35], v[34:35], s[6:7], v[58:59]
	v_add_f64 v[58:59], v[13:14], v[5:6]
	v_add_f64 v[32:33], v[32:33], v[36:37]
	v_fma_f64 v[36:37], v[62:63], s[6:7], v[25:26]
	v_fma_f64 v[56:57], v[38:39], s[12:13], v[56:57]
	;; [unrolled: 1-line block ×3, first 2 shown]
	v_add_f64 v[30:31], v[30:31], v[9:10]
	v_fma_f64 v[40:41], v[44:45], s[6:7], v[40:41]
	v_add_f64 v[62:63], v[64:65], v[66:67]
	v_fma_f64 v[25:26], v[38:39], s[12:13], v[34:35]
	v_fma_f64 v[17:18], v[58:59], -0.5, v[17:18]
	v_add_f64 v[38:39], v[3:4], v[11:12]
	v_fma_f64 v[58:59], v[32:33], s[12:13], v[36:37]
	v_add_f64 v[36:37], v[15:16], v[7:8]
	v_fma_f64 v[34:35], v[54:55], s[18:19], v[52:53]
	v_fma_f64 v[52:53], v[32:33], s[12:13], v[60:61]
	v_add_f64 v[30:31], v[30:31], v[5:6]
	v_fma_f64 v[32:33], v[62:63], s[12:13], v[40:41]
	v_fma_f64 v[40:41], v[44:45], s[18:19], v[17:18]
	v_fma_f64 v[38:39], v[38:39], -0.5, v[19:20]
	v_add_f64 v[60:61], v[13:14], -v[5:6]
	v_add_f64 v[13:14], v[1:2], -v[13:14]
	;; [unrolled: 1-line block ×4, first 2 shown]
	v_fma_f64 v[9:10], v[36:37], -0.5, v[19:20]
	v_fma_f64 v[17:18], v[44:45], s[4:5], v[17:18]
	v_add_f64 v[19:20], v[19:20], v[15:16]
	v_fma_f64 v[34:35], v[44:45], s[20:21], v[34:35]
	v_fma_f64 v[36:37], v[54:55], s[6:7], v[40:41]
	;; [unrolled: 1-line block ×3, first 2 shown]
	v_add_f64 v[44:45], v[15:16], -v[3:4]
	v_add_f64 v[64:65], v[7:8], -v[11:12]
	v_add_f64 v[5:6], v[13:14], v[5:6]
	v_fma_f64 v[13:14], v[1:2], s[4:5], v[9:10]
	v_add_f64 v[15:16], v[3:4], -v[15:16]
	v_add_f64 v[66:67], v[11:12], -v[7:8]
	v_fma_f64 v[17:18], v[54:55], s[20:21], v[17:18]
	v_fma_f64 v[9:10], v[1:2], s[18:19], v[9:10]
	v_add_f64 v[3:4], v[19:20], v[3:4]
	v_fma_f64 v[38:39], v[60:61], s[4:5], v[38:39]
	v_fma_f64 v[19:20], v[1:2], s[20:21], v[40:41]
	v_add_f64 v[40:41], v[44:45], v[64:65]
	v_fma_f64 v[13:14], v[60:61], s[20:21], v[13:14]
	v_add_f64 v[15:16], v[15:16], v[66:67]
	v_fma_f64 v[36:37], v[5:6], s[12:13], v[36:37]
	v_fma_f64 v[17:18], v[5:6], s[12:13], v[17:18]
	;; [unrolled: 1-line block ×3, first 2 shown]
	v_add_f64 v[3:4], v[3:4], v[11:12]
	v_fma_f64 v[1:2], v[1:2], s[6:7], v[38:39]
	s_mov_b32 s22, 0x9b97f4a8
	s_mov_b32 s23, 0x3fe9e377
	v_fma_f64 v[9:10], v[40:41], s[12:13], v[19:20]
	v_fma_f64 v[11:12], v[15:16], s[12:13], v[13:14]
	v_mul_f64 v[13:14], v[32:33], s[22:23]
	v_fma_f64 v[5:6], v[15:16], s[12:13], v[5:6]
	v_fma_f64 v[34:35], v[62:63], s[12:13], v[34:35]
	v_add_f64 v[44:45], v[3:4], v[7:8]
	v_fma_f64 v[3:4], v[40:41], s[12:13], v[1:2]
	v_mul_f64 v[15:16], v[17:18], s[12:13]
	v_add_f64 v[1:2], v[21:22], v[30:31]
	v_mul_f64 v[7:8], v[11:12], s[4:5]
	v_fma_f64 v[38:39], v[9:10], s[6:7], v[13:14]
	v_mul_f64 v[13:14], v[32:33], s[20:21]
	v_mul_f64 v[32:33], v[36:37], s[18:19]
	;; [unrolled: 1-line block ×5, first 2 shown]
	v_fma_f64 v[60:61], v[5:6], s[4:5], -v[15:16]
	v_fma_f64 v[36:37], v[36:37], s[12:13], v[7:8]
	v_add_f64 v[5:6], v[23:24], v[38:39]
	v_fma_f64 v[64:65], v[9:10], s[22:23], v[13:14]
	v_fma_f64 v[66:67], v[11:12], s[12:13], v[32:33]
	v_fma_f64 v[40:41], v[17:18], s[18:19], -v[40:41]
	v_fma_f64 v[62:63], v[3:4], s[6:7], -v[19:20]
	;; [unrolled: 1-line block ×3, first 2 shown]
	v_add_f64 v[3:4], v[50:51], v[44:45]
	v_add_f64 v[9:10], v[46:47], v[36:37]
	;; [unrolled: 1-line block ×8, first 2 shown]
	v_add_f64 v[21:22], v[21:22], -v[30:31]
	v_add_f64 v[30:31], v[23:24], -v[38:39]
	;; [unrolled: 1-line block ×4, first 2 shown]
	s_movk_i32 s24, 0x90
	v_add_f64 v[34:35], v[46:47], -v[36:37]
	v_add_f64 v[36:37], v[52:53], -v[66:67]
	;; [unrolled: 1-line block ×3, first 2 shown]
	v_mad_u32_u24 v25, v28, s24, v27
	v_add_f64 v[38:39], v[42:43], -v[60:61]
	v_add_f64 v[42:43], v[48:49], -v[62:63]
	;; [unrolled: 1-line block ×3, first 2 shown]
	s_barrier
	ds_write_b128 v25, v[1:4]
	ds_write_b128 v25, v[5:8] offset:16
	ds_write_b128 v25, v[9:12] offset:32
	;; [unrolled: 1-line block ×9, first 2 shown]
	v_mul_u32_u24_e32 v1, 9, v28
	v_lshlrev_b32_e32 v25, 4, v1
	s_waitcnt lgkmcnt(0)
	s_barrier
	global_load_dwordx4 v[1:4], v25, s[16:17]
	global_load_dwordx4 v[5:8], v25, s[16:17] offset:16
	global_load_dwordx4 v[9:12], v25, s[16:17] offset:32
	;; [unrolled: 1-line block ×8, first 2 shown]
	ds_read_b128 v[42:45], v27 offset:160
	ds_read_b128 v[46:49], v27 offset:320
	ds_read_b128 v[50:53], v29
	ds_read_b128 v[54:57], v27 offset:480
	ds_read_b128 v[58:61], v27 offset:640
	;; [unrolled: 1-line block ×5, first 2 shown]
	s_andn2_b64 vcc, exec, s[0:1]
	s_mov_b64 s[0:1], -1
	s_waitcnt vmcnt(8) lgkmcnt(7)
	v_mul_f64 v[25:26], v[44:45], v[3:4]
	v_mul_f64 v[3:4], v[42:43], v[3:4]
	s_waitcnt vmcnt(7) lgkmcnt(6)
	v_mul_f64 v[28:29], v[48:49], v[7:8]
	v_mul_f64 v[7:8], v[46:47], v[7:8]
	;; [unrolled: 3-line block ×3, first 2 shown]
	v_fma_f64 v[25:26], v[42:43], v[1:2], -v[25:26]
	v_fma_f64 v[42:43], v[44:45], v[1:2], v[3:4]
	v_fma_f64 v[28:29], v[46:47], v[5:6], -v[28:29]
	v_mul_f64 v[44:45], v[56:57], v[11:12]
	v_mul_f64 v[11:12], v[54:55], v[11:12]
	;; [unrolled: 1-line block ×3, first 2 shown]
	v_fma_f64 v[48:49], v[48:49], v[5:6], v[7:8]
	ds_read_b128 v[1:4], v27 offset:1280
	ds_read_b128 v[5:8], v27 offset:1440
	v_mul_f64 v[15:16], v[58:59], v[15:16]
	s_waitcnt vmcnt(0) lgkmcnt(0)
	s_barrier
	v_fma_f64 v[44:45], v[54:55], v[9:10], -v[44:45]
	v_fma_f64 v[9:10], v[56:57], v[9:10], v[11:12]
	v_fma_f64 v[11:12], v[58:59], v[13:14], -v[46:47]
	v_fma_f64 v[46:47], v[66:67], v[17:18], -v[74:75]
	v_mul_f64 v[54:55], v[1:2], v[23:24]
	v_mul_f64 v[23:24], v[3:4], v[23:24]
	v_fma_f64 v[13:14], v[60:61], v[13:14], v[15:16]
	v_mul_f64 v[15:16], v[64:65], v[32:33]
	v_mul_f64 v[32:33], v[62:63], v[32:33]
	v_add_f64 v[56:57], v[50:51], v[28:29]
	v_fma_f64 v[17:18], v[68:69], v[17:18], v[19:20]
	v_add_f64 v[58:59], v[11:12], v[46:47]
	v_fma_f64 v[3:4], v[3:4], v[21:22], v[54:55]
	v_fma_f64 v[21:22], v[1:2], v[21:22], -v[23:24]
	v_mul_f64 v[54:55], v[72:73], v[36:37]
	v_fma_f64 v[15:16], v[62:63], v[30:31], -v[15:16]
	v_fma_f64 v[30:31], v[64:65], v[30:31], v[32:33]
	v_add_f64 v[1:2], v[56:57], v[11:12]
	v_mul_f64 v[36:37], v[70:71], v[36:37]
	v_fma_f64 v[23:24], v[58:59], -0.5, v[50:51]
	v_add_f64 v[32:33], v[48:49], -v[3:4]
	v_add_f64 v[56:57], v[28:29], v[21:22]
	v_fma_f64 v[19:20], v[70:71], v[34:35], -v[54:55]
	v_mul_f64 v[54:55], v[7:8], v[40:41]
	v_mul_f64 v[40:41], v[5:6], v[40:41]
	v_add_f64 v[60:61], v[13:14], -v[17:18]
	v_add_f64 v[62:63], v[28:29], -v[11:12]
	;; [unrolled: 1-line block ×3, first 2 shown]
	v_fma_f64 v[58:59], v[32:33], s[4:5], v[23:24]
	v_fma_f64 v[34:35], v[72:73], v[34:35], v[36:37]
	v_fma_f64 v[36:37], v[56:57], -0.5, v[50:51]
	v_add_f64 v[1:2], v[1:2], v[46:47]
	v_fma_f64 v[5:6], v[5:6], v[38:39], -v[54:55]
	v_fma_f64 v[7:8], v[7:8], v[38:39], v[40:41]
	v_add_f64 v[40:41], v[13:14], v[17:18]
	v_add_f64 v[50:51], v[62:63], v[64:65]
	v_fma_f64 v[38:39], v[60:61], s[6:7], v[58:59]
	v_fma_f64 v[23:24], v[32:33], s[18:19], v[23:24]
	;; [unrolled: 1-line block ×3, first 2 shown]
	v_add_f64 v[56:57], v[11:12], -v[28:29]
	v_add_f64 v[58:59], v[46:47], -v[21:22]
	v_fma_f64 v[36:37], v[60:61], s[4:5], v[36:37]
	v_add_f64 v[62:63], v[52:53], v[48:49]
	v_add_f64 v[1:2], v[1:2], v[21:22]
	v_fma_f64 v[40:41], v[40:41], -0.5, v[52:53]
	v_add_f64 v[21:22], v[28:29], -v[21:22]
	v_fma_f64 v[28:29], v[50:51], s[12:13], v[38:39]
	v_fma_f64 v[23:24], v[60:61], s[20:21], v[23:24]
	;; [unrolled: 1-line block ×3, first 2 shown]
	v_add_f64 v[54:55], v[56:57], v[58:59]
	v_add_f64 v[56:57], v[48:49], v[3:4]
	v_fma_f64 v[32:33], v[32:33], s[20:21], v[36:37]
	v_add_f64 v[36:37], v[62:63], v[13:14]
	v_fma_f64 v[58:59], v[21:22], s[18:19], v[40:41]
	v_add_f64 v[11:12], v[11:12], -v[46:47]
	v_add_f64 v[46:47], v[48:49], -v[13:14]
	v_add_f64 v[60:61], v[3:4], -v[17:18]
	v_fma_f64 v[50:51], v[50:51], s[12:13], v[23:24]
	v_fma_f64 v[23:24], v[56:57], -0.5, v[52:53]
	v_fma_f64 v[52:53], v[54:55], s[12:13], v[32:33]
	v_add_f64 v[32:33], v[36:37], v[17:18]
	v_fma_f64 v[40:41], v[21:22], s[4:5], v[40:41]
	v_add_f64 v[13:14], v[13:14], -v[48:49]
	v_add_f64 v[48:49], v[25:26], v[44:45]
	v_fma_f64 v[38:39], v[54:55], s[12:13], v[38:39]
	v_fma_f64 v[54:55], v[11:12], s[20:21], v[58:59]
	v_add_f64 v[46:47], v[46:47], v[60:61]
	v_fma_f64 v[56:57], v[11:12], s[4:5], v[23:24]
	v_add_f64 v[17:18], v[17:18], -v[3:4]
	v_add_f64 v[60:61], v[32:33], v[3:4]
	v_fma_f64 v[3:4], v[11:12], s[6:7], v[40:41]
	v_fma_f64 v[11:12], v[11:12], s[18:19], v[23:24]
	v_add_f64 v[23:24], v[48:49], v[15:16]
	v_add_f64 v[36:37], v[15:16], v[19:20]
	v_add_f64 v[48:49], v[44:45], -v[15:16]
	v_fma_f64 v[32:33], v[21:22], s[20:21], v[56:57]
	v_add_f64 v[13:14], v[13:14], v[17:18]
	v_add_f64 v[56:57], v[5:6], -v[19:20]
	v_add_f64 v[58:59], v[9:10], -v[7:8]
	v_fma_f64 v[11:12], v[21:22], s[6:7], v[11:12]
	v_add_f64 v[21:22], v[23:24], v[19:20]
	v_add_f64 v[23:24], v[30:31], v[34:35]
	v_fma_f64 v[36:37], v[36:37], -0.5, v[25:26]
	v_fma_f64 v[54:55], v[46:47], s[12:13], v[54:55]
	v_fma_f64 v[46:47], v[46:47], s[12:13], v[3:4]
	;; [unrolled: 1-line block ×3, first 2 shown]
	v_add_f64 v[3:4], v[44:45], v[5:6]
	v_add_f64 v[32:33], v[48:49], v[56:57]
	;; [unrolled: 1-line block ×3, first 2 shown]
	v_fma_f64 v[21:22], v[23:24], -0.5, v[42:43]
	v_add_f64 v[23:24], v[44:45], -v[5:6]
	v_fma_f64 v[48:49], v[13:14], s[12:13], v[11:12]
	v_add_f64 v[13:14], v[9:10], v[7:8]
	v_fma_f64 v[17:18], v[58:59], s[4:5], v[36:37]
	v_add_f64 v[40:41], v[30:31], -v[34:35]
	v_fma_f64 v[11:12], v[58:59], s[18:19], v[36:37]
	v_fma_f64 v[3:4], v[3:4], -0.5, v[25:26]
	v_add_f64 v[25:26], v[15:16], -v[44:45]
	v_add_f64 v[15:16], v[15:16], -v[19:20]
	v_fma_f64 v[36:37], v[23:24], s[18:19], v[21:22]
	v_add_f64 v[44:45], v[9:10], -v[30:31]
	v_add_f64 v[64:65], v[7:8], -v[34:35]
	;; [unrolled: 1-line block ×3, first 2 shown]
	v_fma_f64 v[13:14], v[13:14], -0.5, v[42:43]
	v_add_f64 v[42:43], v[42:43], v[9:10]
	v_fma_f64 v[17:18], v[40:41], s[6:7], v[17:18]
	v_fma_f64 v[11:12], v[40:41], s[20:21], v[11:12]
	;; [unrolled: 1-line block ×5, first 2 shown]
	v_add_f64 v[40:41], v[44:45], v[64:65]
	v_add_f64 v[5:6], v[25:26], v[5:6]
	v_fma_f64 v[25:26], v[15:16], s[4:5], v[13:14]
	v_add_f64 v[9:10], v[30:31], -v[9:10]
	v_add_f64 v[66:67], v[34:35], -v[7:8]
	v_fma_f64 v[13:14], v[15:16], s[18:19], v[13:14]
	v_add_f64 v[30:31], v[42:43], v[30:31]
	v_fma_f64 v[21:22], v[23:24], s[4:5], v[21:22]
	v_fma_f64 v[3:4], v[58:59], s[20:21], v[3:4]
	;; [unrolled: 1-line block ×5, first 2 shown]
	v_add_f64 v[9:10], v[9:10], v[66:67]
	v_fma_f64 v[13:14], v[23:24], s[6:7], v[13:14]
	v_add_f64 v[30:31], v[30:31], v[34:35]
	v_fma_f64 v[15:16], v[15:16], s[6:7], v[21:22]
	v_fma_f64 v[17:18], v[32:33], s[12:13], v[17:18]
	;; [unrolled: 1-line block ×4, first 2 shown]
	v_mul_f64 v[19:20], v[36:37], s[6:7]
	v_fma_f64 v[21:22], v[9:10], s[12:13], v[25:26]
	v_fma_f64 v[9:10], v[9:10], s[12:13], v[13:14]
	;; [unrolled: 1-line block ×3, first 2 shown]
	v_add_f64 v[25:26], v[30:31], v[7:8]
	v_fma_f64 v[7:8], v[40:41], s[12:13], v[15:16]
	v_mul_f64 v[15:16], v[23:24], s[12:13]
	v_add_f64 v[3:4], v[1:2], v[56:57]
	v_fma_f64 v[32:33], v[17:18], s[22:23], v[19:20]
	v_mul_f64 v[17:18], v[17:18], s[20:21]
	v_mul_f64 v[13:14], v[21:22], s[4:5]
	;; [unrolled: 1-line block ×6, first 2 shown]
	v_fma_f64 v[44:45], v[9:10], s[4:5], -v[15:16]
	s_movk_i32 s4, 0x290
	v_fma_f64 v[58:59], v[36:37], s[22:23], v[17:18]
	v_fma_f64 v[42:43], v[5:6], s[12:13], v[13:14]
	v_fma_f64 v[64:65], v[21:22], s[12:13], v[19:20]
	v_fma_f64 v[66:67], v[23:24], s[18:19], -v[34:35]
	v_fma_f64 v[30:31], v[7:8], s[6:7], -v[30:31]
	v_fma_f64 v[68:69], v[11:12], s[20:21], -v[40:41]
	v_add_f64 v[5:6], v[60:61], v[25:26]
	v_add_f64 v[7:8], v[28:29], v[32:33]
	;; [unrolled: 1-line block ×9, first 2 shown]
	v_add_f64 v[23:24], v[1:2], -v[56:57]
	v_add_f64 v[25:26], v[60:61], -v[25:26]
	v_mul_u32_u24_sdwa v1, v0, s4 dst_sel:DWORD dst_unused:UNUSED_PAD src0_sel:WORD_0 src1_sel:DWORD
	v_add_f64 v[28:29], v[28:29], -v[32:33]
	v_add_f64 v[40:41], v[50:51], -v[30:31]
	;; [unrolled: 1-line block ×3, first 2 shown]
	v_lshrrev_b32_e32 v2, 16, v1
	v_add_f64 v[32:33], v[38:39], -v[42:43]
	v_add_f64 v[34:35], v[62:63], -v[64:65]
	v_mul_lo_u16_e32 v1, 0x64, v2
	v_add_f64 v[36:37], v[52:53], -v[44:45]
	v_add_f64 v[38:39], v[48:49], -v[66:67]
	;; [unrolled: 1-line block ×3, first 2 shown]
	ds_write_b128 v27, v[3:6]
	ds_write_b128 v27, v[7:10] offset:160
	ds_write_b128 v27, v[11:14] offset:320
	;; [unrolled: 1-line block ×9, first 2 shown]
	v_sub_u16_e32 v3, v0, v1
	s_waitcnt lgkmcnt(0)
	s_barrier
	s_cbranch_vccz .LBB0_17
; %bb.15:
	s_andn2_b64 vcc, exec, s[0:1]
	s_cbranch_vccz .LBB0_21
.LBB0_16:
	s_endpgm
.LBB0_17:
	v_mov_b32_e32 v1, s33
	v_add_co_u32_e32 v0, vcc, s48, v2
	v_addc_co_u32_e32 v1, vcc, 0, v1, vcc
	v_cmp_gt_u64_e32 vcc, s[28:29], v[0:1]
	s_and_saveexec_b64 s[0:1], vcc
	s_cbranch_execz .LBB0_20
; %bb.18:
	v_mad_u64_u32 v[4:5], s[4:5], s8, v3, 0
                                        ; kill: def $vgpr6 killed $sgpr0 killed $exec
	v_lshlrev_b32_e32 v7, 4, v3
	s_mov_b32 s6, 0
	v_mad_u64_u32 v[5:6], s[4:5], s9, v3, v[5:6]
	s_lshl_b64 s[4:5], s[2:3], 4
	s_add_u32 s4, s14, s4
	v_lshlrev_b64 v[4:5], 4, v[4:5]
	s_addc_u32 s5, s15, s5
	v_mov_b32_e32 v6, s5
	v_add_co_u32_e32 v4, vcc, s4, v4
	v_addc_co_u32_e32 v5, vcc, v6, v5, vcc
	v_mul_u32_u24_e32 v6, 0x640, v2
	v_add3_u32 v6, v6, v7, 0
	s_mov_b64 s[4:5], 0
.LBB0_19:                               ; =>This Inner Loop Header: Depth=1
	v_add_u32_e32 v15, s6, v2
	v_mad_u64_u32 v[11:12], s[12:13], s10, v15, 0
	s_add_i32 s6, s6, 1
	v_add_co_u32_e32 v13, vcc, s6, v0
	v_addc_co_u32_e32 v14, vcc, 0, v1, vcc
	v_cmp_le_u64_e32 vcc, s[28:29], v[13:14]
	v_mad_u64_u32 v[12:13], s[12:13], s11, v15, v[12:13]
	ds_read_b128 v[7:10], v6
	s_or_b64 s[4:5], vcc, s[4:5]
	v_lshlrev_b64 v[11:12], 4, v[11:12]
	v_add_u32_e32 v6, 0x640, v6
	v_add_co_u32_e32 v11, vcc, v4, v11
	v_addc_co_u32_e32 v12, vcc, v5, v12, vcc
	s_waitcnt lgkmcnt(0)
	global_store_dwordx4 v[11:12], v[7:10], off
	s_andn2_b64 exec, exec, s[4:5]
	s_cbranch_execnz .LBB0_19
.LBB0_20:
	s_or_b64 exec, exec, s[0:1]
	s_cbranch_execnz .LBB0_16
.LBB0_21:
	v_mad_u64_u32 v[0:1], s[0:1], s8, v3, 0
	v_mul_lo_u32 v8, s11, v2
	v_mul_lo_u32 v7, s10, v2
	v_mad_u64_u32 v[4:5], s[0:1], s9, v3, v[1:2]
	s_lshl_b64 s[0:1], s[2:3], 4
	v_mul_u32_u24_e32 v5, 0x640, v2
	v_mov_b32_e32 v1, v4
	v_lshlrev_b32_e32 v3, 4, v3
	s_add_u32 s0, s14, s0
	v_lshlrev_b64 v[0:1], 4, v[0:1]
	v_add3_u32 v15, 0, v5, v3
	s_addc_u32 s1, s15, s1
	ds_read_b128 v[3:6], v15
	v_mov_b32_e32 v9, s1
	v_add_co_u32_e32 v16, vcc, s0, v0
	v_add_u32_e32 v13, 1, v2
	v_addc_co_u32_e32 v17, vcc, v9, v1, vcc
	v_lshlrev_b64 v[0:1], 4, v[7:8]
	ds_read_b128 v[7:10], v15 offset:1600
	v_mad_u64_u32 v[11:12], s[0:1], s10, v13, 0
	v_add_co_u32_e32 v0, vcc, v16, v0
	v_addc_co_u32_e32 v1, vcc, v17, v1, vcc
	s_waitcnt lgkmcnt(1)
	global_store_dwordx4 v[0:1], v[3:6], off
	v_mov_b32_e32 v0, v12
	v_or_b32_e32 v4, 2, v2
	v_mad_u64_u32 v[0:1], s[0:1], s11, v13, v[0:1]
	v_mad_u64_u32 v[13:14], s[0:1], s10, v4, 0
	v_mov_b32_e32 v12, v0
	v_lshlrev_b64 v[0:1], 4, v[11:12]
	v_mov_b32_e32 v3, v14
	v_mad_u64_u32 v[3:4], s[0:1], s11, v4, v[3:4]
	v_add_co_u32_e32 v0, vcc, v16, v0
	v_addc_co_u32_e32 v1, vcc, v17, v1, vcc
	v_mov_b32_e32 v14, v3
	s_waitcnt lgkmcnt(0)
	global_store_dwordx4 v[0:1], v[7:10], off
	ds_read_b128 v[3:6], v15 offset:3200
	ds_read_b128 v[7:10], v15 offset:4800
	v_lshlrev_b64 v[0:1], 4, v[13:14]
	v_add_u32_e32 v13, 3, v2
	v_mad_u64_u32 v[11:12], s[0:1], s10, v13, 0
	v_add_co_u32_e32 v0, vcc, v16, v0
	v_addc_co_u32_e32 v1, vcc, v17, v1, vcc
	s_waitcnt lgkmcnt(1)
	global_store_dwordx4 v[0:1], v[3:6], off
	v_mov_b32_e32 v0, v12
	v_or_b32_e32 v4, 4, v2
	v_mad_u64_u32 v[0:1], s[0:1], s11, v13, v[0:1]
	v_mad_u64_u32 v[13:14], s[0:1], s10, v4, 0
	v_mov_b32_e32 v12, v0
	v_lshlrev_b64 v[0:1], 4, v[11:12]
	v_mov_b32_e32 v3, v14
	v_mad_u64_u32 v[3:4], s[0:1], s11, v4, v[3:4]
	v_add_co_u32_e32 v0, vcc, v16, v0
	v_addc_co_u32_e32 v1, vcc, v17, v1, vcc
	s_waitcnt lgkmcnt(0)
	global_store_dwordx4 v[0:1], v[7:10], off
	v_mov_b32_e32 v14, v3
	v_add_u32_e32 v7, 0x1800, v15
	ds_read2_b64 v[3:6], v7 offset0:32 offset1:33
	v_lshlrev_b64 v[0:1], 4, v[13:14]
	v_add_u32_e32 v13, 5, v2
	v_mad_u64_u32 v[11:12], s[0:1], s10, v13, 0
	v_add_co_u32_e32 v0, vcc, v16, v0
	v_addc_co_u32_e32 v1, vcc, v17, v1, vcc
	s_waitcnt lgkmcnt(0)
	global_store_dwordx4 v[0:1], v[3:6], off
	v_mov_b32_e32 v0, v12
	v_mad_u64_u32 v[0:1], s[0:1], s11, v13, v[0:1]
	v_or_b32_e32 v4, 6, v2
	ds_read2_b64 v[7:10], v7 offset0:232 offset1:233
	v_mad_u64_u32 v[13:14], s[0:1], s10, v4, 0
	v_mov_b32_e32 v12, v0
	v_lshlrev_b64 v[0:1], 4, v[11:12]
	v_mov_b32_e32 v3, v14
	v_add_co_u32_e32 v0, vcc, v16, v0
	v_addc_co_u32_e32 v1, vcc, v17, v1, vcc
	v_mad_u64_u32 v[3:4], s[0:1], s11, v4, v[3:4]
	s_waitcnt lgkmcnt(0)
	global_store_dwordx4 v[0:1], v[7:10], off
	v_mov_b32_e32 v14, v3
	v_add_u32_e32 v9, 7, v2
	v_mad_u64_u32 v[0:1], s[0:1], s10, v9, 0
	v_add_u32_e32 v3, 0x2000, v15
	ds_read2_b64 v[3:6], v3 offset0:176 offset1:177
	v_mad_u64_u32 v[9:10], s[0:1], s11, v9, v[1:2]
	v_lshlrev_b64 v[7:8], 4, v[13:14]
	v_add_co_u32_e32 v7, vcc, v16, v7
	v_addc_co_u32_e32 v8, vcc, v17, v8, vcc
	v_mov_b32_e32 v1, v9
	v_or_b32_e32 v9, 8, v2
	s_waitcnt lgkmcnt(0)
	global_store_dwordx4 v[7:8], v[3:6], off
	v_mad_u64_u32 v[7:8], s[0:1], s10, v9, 0
	v_add_u32_e32 v3, 0x2800, v15
	ds_read2_b64 v[3:6], v3 offset0:120 offset1:121
	v_lshlrev_b64 v[0:1], 4, v[0:1]
	v_mad_u64_u32 v[8:9], s[0:1], s11, v9, v[8:9]
	v_add_co_u32_e32 v0, vcc, v16, v0
	v_addc_co_u32_e32 v1, vcc, v17, v1, vcc
	v_add_u32_e32 v9, 9, v2
	s_waitcnt lgkmcnt(0)
	global_store_dwordx4 v[0:1], v[3:6], off
	v_add_u32_e32 v0, 0x3000, v15
	v_mad_u64_u32 v[4:5], s[0:1], s10, v9, 0
	ds_read2_b64 v[0:3], v0 offset0:64 offset1:65
	v_lshlrev_b64 v[6:7], 4, v[7:8]
	v_mad_u64_u32 v[8:9], s[0:1], s11, v9, v[5:6]
	v_add_co_u32_e32 v5, vcc, v16, v6
	v_addc_co_u32_e32 v6, vcc, v17, v7, vcc
	s_waitcnt lgkmcnt(0)
	global_store_dwordx4 v[5:6], v[0:3], off
	v_mov_b32_e32 v5, v8
	v_add_u32_e32 v0, 0x3800, v15
	ds_read2_b64 v[0:3], v0 offset0:8 offset1:9
	v_lshlrev_b64 v[4:5], 4, v[4:5]
	v_add_co_u32_e32 v4, vcc, v16, v4
	v_addc_co_u32_e32 v5, vcc, v17, v5, vcc
	s_waitcnt lgkmcnt(0)
	global_store_dwordx4 v[4:5], v[0:3], off
	s_endpgm
	.section	.rodata,"a",@progbits
	.p2align	6, 0x0
	.amdhsa_kernel fft_rtc_fwd_len100_factors_10_10_wgs_100_tpt_10_dp_op_CI_CI_sbcr
		.amdhsa_group_segment_fixed_size 0
		.amdhsa_private_segment_fixed_size 0
		.amdhsa_kernarg_size 104
		.amdhsa_user_sgpr_count 6
		.amdhsa_user_sgpr_private_segment_buffer 1
		.amdhsa_user_sgpr_dispatch_ptr 0
		.amdhsa_user_sgpr_queue_ptr 0
		.amdhsa_user_sgpr_kernarg_segment_ptr 1
		.amdhsa_user_sgpr_dispatch_id 0
		.amdhsa_user_sgpr_flat_scratch_init 0
		.amdhsa_user_sgpr_private_segment_size 0
		.amdhsa_uses_dynamic_stack 0
		.amdhsa_system_sgpr_private_segment_wavefront_offset 0
		.amdhsa_system_sgpr_workgroup_id_x 1
		.amdhsa_system_sgpr_workgroup_id_y 0
		.amdhsa_system_sgpr_workgroup_id_z 0
		.amdhsa_system_sgpr_workgroup_info 0
		.amdhsa_system_vgpr_workitem_id 0
		.amdhsa_next_free_vgpr 76
		.amdhsa_next_free_sgpr 55
		.amdhsa_reserve_vcc 1
		.amdhsa_reserve_flat_scratch 0
		.amdhsa_float_round_mode_32 0
		.amdhsa_float_round_mode_16_64 0
		.amdhsa_float_denorm_mode_32 3
		.amdhsa_float_denorm_mode_16_64 3
		.amdhsa_dx10_clamp 1
		.amdhsa_ieee_mode 1
		.amdhsa_fp16_overflow 0
		.amdhsa_exception_fp_ieee_invalid_op 0
		.amdhsa_exception_fp_denorm_src 0
		.amdhsa_exception_fp_ieee_div_zero 0
		.amdhsa_exception_fp_ieee_overflow 0
		.amdhsa_exception_fp_ieee_underflow 0
		.amdhsa_exception_fp_ieee_inexact 0
		.amdhsa_exception_int_div_zero 0
	.end_amdhsa_kernel
	.text
.Lfunc_end0:
	.size	fft_rtc_fwd_len100_factors_10_10_wgs_100_tpt_10_dp_op_CI_CI_sbcr, .Lfunc_end0-fft_rtc_fwd_len100_factors_10_10_wgs_100_tpt_10_dp_op_CI_CI_sbcr
                                        ; -- End function
	.section	.AMDGPU.csdata,"",@progbits
; Kernel info:
; codeLenInByte = 6960
; NumSgprs: 59
; NumVgprs: 76
; ScratchSize: 0
; MemoryBound: 0
; FloatMode: 240
; IeeeMode: 1
; LDSByteSize: 0 bytes/workgroup (compile time only)
; SGPRBlocks: 7
; VGPRBlocks: 18
; NumSGPRsForWavesPerEU: 59
; NumVGPRsForWavesPerEU: 76
; Occupancy: 3
; WaveLimiterHint : 1
; COMPUTE_PGM_RSRC2:SCRATCH_EN: 0
; COMPUTE_PGM_RSRC2:USER_SGPR: 6
; COMPUTE_PGM_RSRC2:TRAP_HANDLER: 0
; COMPUTE_PGM_RSRC2:TGID_X_EN: 1
; COMPUTE_PGM_RSRC2:TGID_Y_EN: 0
; COMPUTE_PGM_RSRC2:TGID_Z_EN: 0
; COMPUTE_PGM_RSRC2:TIDIG_COMP_CNT: 0
	.type	__hip_cuid_ce10942a07b23e63,@object ; @__hip_cuid_ce10942a07b23e63
	.section	.bss,"aw",@nobits
	.globl	__hip_cuid_ce10942a07b23e63
__hip_cuid_ce10942a07b23e63:
	.byte	0                               ; 0x0
	.size	__hip_cuid_ce10942a07b23e63, 1

	.ident	"AMD clang version 19.0.0git (https://github.com/RadeonOpenCompute/llvm-project roc-6.4.0 25133 c7fe45cf4b819c5991fe208aaa96edf142730f1d)"
	.section	".note.GNU-stack","",@progbits
	.addrsig
	.addrsig_sym __hip_cuid_ce10942a07b23e63
	.amdgpu_metadata
---
amdhsa.kernels:
  - .args:
      - .actual_access:  read_only
        .address_space:  global
        .offset:         0
        .size:           8
        .value_kind:     global_buffer
      - .offset:         8
        .size:           8
        .value_kind:     by_value
      - .actual_access:  read_only
        .address_space:  global
        .offset:         16
        .size:           8
        .value_kind:     global_buffer
      - .actual_access:  read_only
        .address_space:  global
        .offset:         24
        .size:           8
        .value_kind:     global_buffer
      - .actual_access:  read_only
        .address_space:  global
        .offset:         32
        .size:           8
        .value_kind:     global_buffer
      - .offset:         40
        .size:           8
        .value_kind:     by_value
      - .actual_access:  read_only
        .address_space:  global
        .offset:         48
        .size:           8
        .value_kind:     global_buffer
      - .actual_access:  read_only
        .address_space:  global
        .offset:         56
        .size:           8
        .value_kind:     global_buffer
      - .offset:         64
        .size:           4
        .value_kind:     by_value
      - .actual_access:  read_only
        .address_space:  global
        .offset:         72
        .size:           8
        .value_kind:     global_buffer
      - .actual_access:  read_only
        .address_space:  global
        .offset:         80
        .size:           8
        .value_kind:     global_buffer
      - .actual_access:  read_only
        .address_space:  global
        .offset:         88
        .size:           8
        .value_kind:     global_buffer
      - .actual_access:  write_only
        .address_space:  global
        .offset:         96
        .size:           8
        .value_kind:     global_buffer
    .group_segment_fixed_size: 0
    .kernarg_segment_align: 8
    .kernarg_segment_size: 104
    .language:       OpenCL C
    .language_version:
      - 2
      - 0
    .max_flat_workgroup_size: 100
    .name:           fft_rtc_fwd_len100_factors_10_10_wgs_100_tpt_10_dp_op_CI_CI_sbcr
    .private_segment_fixed_size: 0
    .sgpr_count:     59
    .sgpr_spill_count: 0
    .symbol:         fft_rtc_fwd_len100_factors_10_10_wgs_100_tpt_10_dp_op_CI_CI_sbcr.kd
    .uniform_work_group_size: 1
    .uses_dynamic_stack: false
    .vgpr_count:     76
    .vgpr_spill_count: 0
    .wavefront_size: 64
amdhsa.target:   amdgcn-amd-amdhsa--gfx906
amdhsa.version:
  - 1
  - 2
...

	.end_amdgpu_metadata
